;; amdgpu-corpus repo=ROCm/rocFFT kind=compiled arch=gfx1030 opt=O3
	.text
	.amdgcn_target "amdgcn-amd-amdhsa--gfx1030"
	.amdhsa_code_object_version 6
	.protected	fft_rtc_fwd_len539_factors_11_7_7_wgs_231_tpt_77_halfLds_dp_ip_CI_sbrr_dirReg ; -- Begin function fft_rtc_fwd_len539_factors_11_7_7_wgs_231_tpt_77_halfLds_dp_ip_CI_sbrr_dirReg
	.globl	fft_rtc_fwd_len539_factors_11_7_7_wgs_231_tpt_77_halfLds_dp_ip_CI_sbrr_dirReg
	.p2align	8
	.type	fft_rtc_fwd_len539_factors_11_7_7_wgs_231_tpt_77_halfLds_dp_ip_CI_sbrr_dirReg,@function
fft_rtc_fwd_len539_factors_11_7_7_wgs_231_tpt_77_halfLds_dp_ip_CI_sbrr_dirReg: ; @fft_rtc_fwd_len539_factors_11_7_7_wgs_231_tpt_77_halfLds_dp_ip_CI_sbrr_dirReg
; %bb.0:
	s_clause 0x1
	s_load_dwordx2 s[14:15], s[4:5], 0x18
	s_load_dwordx4 s[8:11], s[4:5], 0x0
	v_mul_u32_u24_e32 v1, 0x354, v0
	v_mov_b32_e32 v3, 0
	s_load_dwordx2 s[12:13], s[4:5], 0x50
	s_waitcnt lgkmcnt(0)
	s_load_dwordx2 s[2:3], s[14:15], 0x0
	v_lshrrev_b32_e32 v1, 16, v1
	v_cmp_lt_u64_e64 s0, s[10:11], 2
	v_mad_u64_u32 v[44:45], null, s6, 3, v[1:2]
	v_mov_b32_e32 v45, v3
	v_mov_b32_e32 v1, 0
	;; [unrolled: 1-line block ×3, first 2 shown]
	s_and_b32 vcc_lo, exec_lo, s0
	v_mov_b32_e32 v7, v44
	v_mov_b32_e32 v8, v45
	s_cbranch_vccnz .LBB0_8
; %bb.1:
	s_load_dwordx2 s[0:1], s[4:5], 0x10
	v_mov_b32_e32 v1, 0
	v_mov_b32_e32 v5, v44
	s_add_u32 s6, s14, 8
	v_mov_b32_e32 v2, 0
	v_mov_b32_e32 v6, v45
	s_addc_u32 s7, s15, 0
	s_mov_b64 s[18:19], 1
	s_waitcnt lgkmcnt(0)
	s_add_u32 s16, s0, 8
	s_addc_u32 s17, s1, 0
.LBB0_2:                                ; =>This Inner Loop Header: Depth=1
	s_load_dwordx2 s[20:21], s[16:17], 0x0
                                        ; implicit-def: $vgpr7_vgpr8
	s_mov_b32 s0, exec_lo
	s_waitcnt lgkmcnt(0)
	v_or_b32_e32 v4, s21, v6
	v_cmpx_ne_u64_e32 0, v[3:4]
	s_xor_b32 s1, exec_lo, s0
	s_cbranch_execz .LBB0_4
; %bb.3:                                ;   in Loop: Header=BB0_2 Depth=1
	v_cvt_f32_u32_e32 v4, s20
	v_cvt_f32_u32_e32 v7, s21
	s_sub_u32 s0, 0, s20
	s_subb_u32 s22, 0, s21
	v_fmac_f32_e32 v4, 0x4f800000, v7
	v_rcp_f32_e32 v4, v4
	v_mul_f32_e32 v4, 0x5f7ffffc, v4
	v_mul_f32_e32 v7, 0x2f800000, v4
	v_trunc_f32_e32 v7, v7
	v_fmac_f32_e32 v4, 0xcf800000, v7
	v_cvt_u32_f32_e32 v7, v7
	v_cvt_u32_f32_e32 v4, v4
	v_mul_lo_u32 v8, s0, v7
	v_mul_hi_u32 v9, s0, v4
	v_mul_lo_u32 v10, s22, v4
	v_add_nc_u32_e32 v8, v9, v8
	v_mul_lo_u32 v9, s0, v4
	v_add_nc_u32_e32 v8, v8, v10
	v_mul_hi_u32 v10, v4, v9
	v_mul_lo_u32 v11, v4, v8
	v_mul_hi_u32 v12, v4, v8
	v_mul_hi_u32 v13, v7, v9
	v_mul_lo_u32 v9, v7, v9
	v_mul_hi_u32 v14, v7, v8
	v_mul_lo_u32 v8, v7, v8
	v_add_co_u32 v10, vcc_lo, v10, v11
	v_add_co_ci_u32_e32 v11, vcc_lo, 0, v12, vcc_lo
	v_add_co_u32 v9, vcc_lo, v10, v9
	v_add_co_ci_u32_e32 v9, vcc_lo, v11, v13, vcc_lo
	v_add_co_ci_u32_e32 v10, vcc_lo, 0, v14, vcc_lo
	v_add_co_u32 v8, vcc_lo, v9, v8
	v_add_co_ci_u32_e32 v9, vcc_lo, 0, v10, vcc_lo
	v_add_co_u32 v4, vcc_lo, v4, v8
	v_add_co_ci_u32_e32 v7, vcc_lo, v7, v9, vcc_lo
	v_mul_hi_u32 v8, s0, v4
	v_mul_lo_u32 v10, s22, v4
	v_mul_lo_u32 v9, s0, v7
	v_add_nc_u32_e32 v8, v8, v9
	v_mul_lo_u32 v9, s0, v4
	v_add_nc_u32_e32 v8, v8, v10
	v_mul_hi_u32 v10, v4, v9
	v_mul_lo_u32 v11, v4, v8
	v_mul_hi_u32 v12, v4, v8
	v_mul_hi_u32 v13, v7, v9
	v_mul_lo_u32 v9, v7, v9
	v_mul_hi_u32 v14, v7, v8
	v_mul_lo_u32 v8, v7, v8
	v_add_co_u32 v10, vcc_lo, v10, v11
	v_add_co_ci_u32_e32 v11, vcc_lo, 0, v12, vcc_lo
	v_add_co_u32 v9, vcc_lo, v10, v9
	v_add_co_ci_u32_e32 v9, vcc_lo, v11, v13, vcc_lo
	v_add_co_ci_u32_e32 v10, vcc_lo, 0, v14, vcc_lo
	v_add_co_u32 v8, vcc_lo, v9, v8
	v_add_co_ci_u32_e32 v9, vcc_lo, 0, v10, vcc_lo
	v_add_co_u32 v4, vcc_lo, v4, v8
	v_add_co_ci_u32_e32 v11, vcc_lo, v7, v9, vcc_lo
	v_mul_hi_u32 v13, v5, v4
	v_mad_u64_u32 v[9:10], null, v6, v4, 0
	v_mad_u64_u32 v[7:8], null, v5, v11, 0
	v_mad_u64_u32 v[11:12], null, v6, v11, 0
	v_add_co_u32 v4, vcc_lo, v13, v7
	v_add_co_ci_u32_e32 v7, vcc_lo, 0, v8, vcc_lo
	v_add_co_u32 v4, vcc_lo, v4, v9
	v_add_co_ci_u32_e32 v4, vcc_lo, v7, v10, vcc_lo
	v_add_co_ci_u32_e32 v7, vcc_lo, 0, v12, vcc_lo
	v_add_co_u32 v4, vcc_lo, v4, v11
	v_add_co_ci_u32_e32 v9, vcc_lo, 0, v7, vcc_lo
	v_mul_lo_u32 v10, s21, v4
	v_mad_u64_u32 v[7:8], null, s20, v4, 0
	v_mul_lo_u32 v11, s20, v9
	v_sub_co_u32 v7, vcc_lo, v5, v7
	v_add3_u32 v8, v8, v11, v10
	v_sub_nc_u32_e32 v10, v6, v8
	v_subrev_co_ci_u32_e64 v10, s0, s21, v10, vcc_lo
	v_add_co_u32 v11, s0, v4, 2
	v_add_co_ci_u32_e64 v12, s0, 0, v9, s0
	v_sub_co_u32 v13, s0, v7, s20
	v_sub_co_ci_u32_e32 v8, vcc_lo, v6, v8, vcc_lo
	v_subrev_co_ci_u32_e64 v10, s0, 0, v10, s0
	v_cmp_le_u32_e32 vcc_lo, s20, v13
	v_cmp_eq_u32_e64 s0, s21, v8
	v_cndmask_b32_e64 v13, 0, -1, vcc_lo
	v_cmp_le_u32_e32 vcc_lo, s21, v10
	v_cndmask_b32_e64 v14, 0, -1, vcc_lo
	v_cmp_le_u32_e32 vcc_lo, s20, v7
	;; [unrolled: 2-line block ×3, first 2 shown]
	v_cndmask_b32_e64 v15, 0, -1, vcc_lo
	v_cmp_eq_u32_e32 vcc_lo, s21, v10
	v_cndmask_b32_e64 v7, v15, v7, s0
	v_cndmask_b32_e32 v10, v14, v13, vcc_lo
	v_add_co_u32 v13, vcc_lo, v4, 1
	v_add_co_ci_u32_e32 v14, vcc_lo, 0, v9, vcc_lo
	v_cmp_ne_u32_e32 vcc_lo, 0, v10
	v_cndmask_b32_e32 v8, v14, v12, vcc_lo
	v_cndmask_b32_e32 v10, v13, v11, vcc_lo
	v_cmp_ne_u32_e32 vcc_lo, 0, v7
	v_cndmask_b32_e32 v8, v9, v8, vcc_lo
	v_cndmask_b32_e32 v7, v4, v10, vcc_lo
.LBB0_4:                                ;   in Loop: Header=BB0_2 Depth=1
	s_andn2_saveexec_b32 s0, s1
	s_cbranch_execz .LBB0_6
; %bb.5:                                ;   in Loop: Header=BB0_2 Depth=1
	v_cvt_f32_u32_e32 v4, s20
	s_sub_i32 s1, 0, s20
	v_rcp_iflag_f32_e32 v4, v4
	v_mul_f32_e32 v4, 0x4f7ffffe, v4
	v_cvt_u32_f32_e32 v4, v4
	v_mul_lo_u32 v7, s1, v4
	v_mul_hi_u32 v7, v4, v7
	v_add_nc_u32_e32 v4, v4, v7
	v_mul_hi_u32 v4, v5, v4
	v_mul_lo_u32 v7, v4, s20
	v_add_nc_u32_e32 v8, 1, v4
	v_sub_nc_u32_e32 v7, v5, v7
	v_subrev_nc_u32_e32 v9, s20, v7
	v_cmp_le_u32_e32 vcc_lo, s20, v7
	v_cndmask_b32_e32 v7, v7, v9, vcc_lo
	v_cndmask_b32_e32 v4, v4, v8, vcc_lo
	v_cmp_le_u32_e32 vcc_lo, s20, v7
	v_add_nc_u32_e32 v8, 1, v4
	v_cndmask_b32_e32 v7, v4, v8, vcc_lo
	v_mov_b32_e32 v8, v3
.LBB0_6:                                ;   in Loop: Header=BB0_2 Depth=1
	s_or_b32 exec_lo, exec_lo, s0
	s_load_dwordx2 s[0:1], s[6:7], 0x0
	v_mul_lo_u32 v4, v8, s20
	v_mul_lo_u32 v11, v7, s21
	v_mad_u64_u32 v[9:10], null, v7, s20, 0
	s_add_u32 s18, s18, 1
	s_addc_u32 s19, s19, 0
	s_add_u32 s6, s6, 8
	s_addc_u32 s7, s7, 0
	s_add_u32 s16, s16, 8
	s_addc_u32 s17, s17, 0
	v_add3_u32 v4, v10, v11, v4
	v_sub_co_u32 v5, vcc_lo, v5, v9
	v_sub_co_ci_u32_e32 v4, vcc_lo, v6, v4, vcc_lo
	s_waitcnt lgkmcnt(0)
	v_mul_lo_u32 v6, s1, v5
	v_mul_lo_u32 v4, s0, v4
	v_mad_u64_u32 v[1:2], null, s0, v5, v[1:2]
	v_cmp_ge_u64_e64 s0, s[18:19], s[10:11]
	s_and_b32 vcc_lo, exec_lo, s0
	v_add3_u32 v2, v6, v2, v4
	s_cbranch_vccnz .LBB0_8
; %bb.7:                                ;   in Loop: Header=BB0_2 Depth=1
	v_mov_b32_e32 v5, v7
	v_mov_b32_e32 v6, v8
	s_branch .LBB0_2
.LBB0_8:
	s_lshl_b64 s[0:1], s[10:11], 3
	v_mul_hi_u32 v3, 0x3531ded, v0
	s_add_u32 s0, s14, s0
	s_addc_u32 s1, s15, s1
	v_mov_b32_e32 v59, 0
	s_load_dwordx2 s[0:1], s[0:1], 0x0
	s_load_dwordx2 s[4:5], s[4:5], 0x20
                                        ; implicit-def: $vgpr10_vgpr11
                                        ; implicit-def: $vgpr14_vgpr15
                                        ; implicit-def: $vgpr18_vgpr19
                                        ; implicit-def: $vgpr26_vgpr27
                                        ; implicit-def: $vgpr22_vgpr23
                                        ; implicit-def: $vgpr34_vgpr35
                                        ; implicit-def: $vgpr30_vgpr31
                                        ; implicit-def: $vgpr38_vgpr39
                                        ; implicit-def: $vgpr42_vgpr43
	s_waitcnt lgkmcnt(0)
	v_mul_lo_u32 v4, s0, v8
	v_mul_lo_u32 v5, s1, v7
	v_mad_u64_u32 v[56:57], null, s0, v7, v[1:2]
	v_mul_u32_u24_e32 v1, 0x4d, v3
	v_cmp_gt_u64_e32 vcc_lo, s[4:5], v[7:8]
                                        ; implicit-def: $vgpr6_vgpr7
                                        ; implicit-def: $vgpr2_vgpr3
	v_sub_nc_u32_e32 v58, v0, v1
	v_add3_u32 v57, v5, v57, v4
	s_and_saveexec_b32 s1, vcc_lo
	s_cbranch_execz .LBB0_12
; %bb.9:
	s_mov_b32 s4, exec_lo
                                        ; implicit-def: $vgpr0_vgpr1
                                        ; implicit-def: $vgpr40_vgpr41
                                        ; implicit-def: $vgpr36_vgpr37
                                        ; implicit-def: $vgpr28_vgpr29
                                        ; implicit-def: $vgpr32_vgpr33
                                        ; implicit-def: $vgpr20_vgpr21
                                        ; implicit-def: $vgpr24_vgpr25
                                        ; implicit-def: $vgpr16_vgpr17
                                        ; implicit-def: $vgpr12_vgpr13
                                        ; implicit-def: $vgpr8_vgpr9
                                        ; implicit-def: $vgpr4_vgpr5
	v_cmpx_gt_u32_e32 49, v58
	s_cbranch_execz .LBB0_11
; %bb.10:
	v_add_nc_u32_e32 v7, 49, v58
	v_mad_u64_u32 v[0:1], null, s2, v58, 0
	v_add_nc_u32_e32 v12, 0x62, v58
	v_add_nc_u32_e32 v13, 0x93, v58
	v_mad_u64_u32 v[2:3], null, s2, v7, 0
	v_add_nc_u32_e32 v15, 0xc4, v58
	;; [unrolled: 3-line block ×3, first 2 shown]
	v_add_nc_u32_e32 v45, 0x1b9, v58
	v_mad_u64_u32 v[4:5], null, s3, v58, v[1:2]
	v_mov_b32_e32 v1, v3
	v_lshlrev_b64 v[5:6], 4, v[56:57]
	v_add_nc_u32_e32 v46, 0x1ea, v58
	v_mad_u64_u32 v[7:8], null, s3, v7, v[1:2]
	v_mad_u64_u32 v[8:9], null, s2, v12, 0
	v_mov_b32_e32 v1, v4
	v_add_co_u32 v26, s0, s12, v5
	v_add_co_ci_u32_e64 v27, s0, s13, v6, s0
	v_mov_b32_e32 v3, v7
	v_mov_b32_e32 v4, v9
	v_mad_u64_u32 v[6:7], null, s2, v15, 0
	v_lshlrev_b64 v[0:1], 4, v[0:1]
	v_lshlrev_b64 v[2:3], 4, v[2:3]
	v_mad_u64_u32 v[4:5], null, s3, v12, v[4:5]
	v_mov_b32_e32 v5, v11
	v_mad_u64_u32 v[24:25], null, s2, v46, 0
	v_add_co_u32 v0, s0, v26, v0
	v_add_co_ci_u32_e64 v1, s0, v27, v1, s0
	v_mov_b32_e32 v9, v4
	v_mad_u64_u32 v[4:5], null, s3, v13, v[5:6]
	v_mad_u64_u32 v[13:14], null, s2, v18, 0
	v_mov_b32_e32 v5, v7
	v_add_co_u32 v11, s0, v26, v2
	v_add_co_ci_u32_e64 v12, s0, v27, v3, s0
	v_lshlrev_b64 v[7:8], 4, v[8:9]
	v_mad_u64_u32 v[15:16], null, s3, v15, v[5:6]
	s_clause 0x1
	global_load_dwordx4 v[0:3], v[0:1], off
	global_load_dwordx4 v[40:43], v[11:12], off
	v_mov_b32_e32 v11, v4
	v_mov_b32_e32 v4, v14
	v_add_co_u32 v16, s0, v26, v7
	v_add_co_ci_u32_e64 v17, s0, v27, v8, s0
	v_mad_u64_u32 v[4:5], null, s3, v18, v[4:5]
	v_lshlrev_b64 v[8:9], 4, v[10:11]
	v_mov_b32_e32 v7, v15
	v_add_nc_u32_e32 v12, 0x126, v58
	v_add_nc_u32_e32 v18, 0x157, v58
	v_lshlrev_b64 v[5:6], 4, v[6:7]
	v_mad_u64_u32 v[10:11], null, s2, v12, 0
	v_add_co_u32 v8, s0, v26, v8
	v_mov_b32_e32 v14, v4
	v_add_co_ci_u32_e64 v9, s0, v27, v9, s0
	v_add_co_u32 v4, s0, v26, v5
	s_clause 0x1
	global_load_dwordx4 v[36:39], v[16:17], off
	global_load_dwordx4 v[28:31], v[8:9], off
	v_lshlrev_b64 v[7:8], 4, v[13:14]
	v_add_co_ci_u32_e64 v5, s0, v27, v6, s0
	v_mov_b32_e32 v6, v11
	v_mad_u64_u32 v[14:15], null, s2, v20, 0
	v_mad_u64_u32 v[16:17], null, s2, v45, 0
	;; [unrolled: 1-line block ×4, first 2 shown]
	v_add_co_u32 v6, s0, v26, v7
	v_add_co_ci_u32_e64 v7, s0, v27, v8, s0
	v_mov_b32_e32 v9, v15
	v_mov_b32_e32 v8, v13
	v_mad_u64_u32 v[18:19], null, s3, v18, v[8:9]
	v_mad_u64_u32 v[8:9], null, s3, v20, v[9:10]
	s_clause 0x1
	global_load_dwordx4 v[32:35], v[4:5], off
	global_load_dwordx4 v[20:23], v[6:7], off
	v_lshlrev_b64 v[5:6], 4, v[10:11]
	v_mov_b32_e32 v4, v17
	v_mov_b32_e32 v13, v18
	;; [unrolled: 1-line block ×3, first 2 shown]
	v_mad_u64_u32 v[7:8], null, s3, v45, v[4:5]
	v_mov_b32_e32 v4, v25
	v_add_co_u32 v5, s0, v26, v5
	v_lshlrev_b64 v[8:9], 4, v[12:13]
	v_add_co_ci_u32_e64 v6, s0, v27, v6, s0
	v_mad_u64_u32 v[10:11], null, s3, v46, v[4:5]
	v_lshlrev_b64 v[11:12], 4, v[14:15]
	v_mov_b32_e32 v17, v7
	v_add_co_u32 v7, s0, v26, v8
	v_add_co_ci_u32_e64 v8, s0, v27, v9, s0
	v_mov_b32_e32 v25, v10
	v_lshlrev_b64 v[13:14], 4, v[16:17]
	v_add_co_u32 v9, s0, v26, v11
	v_add_co_ci_u32_e64 v10, s0, v27, v12, s0
	v_lshlrev_b64 v[11:12], 4, v[24:25]
	v_add_co_u32 v45, s0, v26, v13
	v_add_co_ci_u32_e64 v46, s0, v27, v14, s0
	v_add_co_u32 v47, s0, v26, v11
	v_add_co_ci_u32_e64 v48, s0, v27, v12, s0
	s_clause 0x4
	global_load_dwordx4 v[24:27], v[5:6], off
	global_load_dwordx4 v[16:19], v[7:8], off
	;; [unrolled: 1-line block ×5, first 2 shown]
.LBB0_11:
	s_or_b32 exec_lo, exec_lo, s4
	v_mov_b32_e32 v59, v58
.LBB0_12:
	s_or_b32 exec_lo, exec_lo, s1
	v_mul_hi_u32 v45, 0xaaaaaaab, v44
	v_cmp_gt_u32_e64 s0, 49, v58
	v_lshrrev_b32_e32 v45, 1, v45
	v_lshl_add_u32 v45, v45, 1, v45
	v_sub_nc_u32_e32 v44, v44, v45
	v_mul_u32_u24_e32 v44, 0x21b, v44
	v_lshlrev_b32_e32 v60, 3, v44
	s_and_saveexec_b32 s1, s0
	s_cbranch_execz .LBB0_14
; %bb.13:
	s_waitcnt vmcnt(9)
	v_add_f64 v[44:45], v[40:41], v[0:1]
	s_waitcnt vmcnt(0)
	v_add_f64 v[46:47], v[42:43], -v[6:7]
	v_add_f64 v[54:55], v[30:31], -v[14:15]
	;; [unrolled: 1-line block ×4, first 2 shown]
	s_mov_b32 s18, 0xfd768dbf
	s_mov_b32 s24, 0xbb3a28a1
	;; [unrolled: 1-line block ×8, first 2 shown]
	v_add_f64 v[48:49], v[4:5], v[40:41]
	v_add_f64 v[50:51], v[38:39], -v[10:11]
	s_mov_b32 s21, 0x3fe14ced
	s_mov_b32 s23, 0xbfefac9e
	s_mov_b32 s29, 0xbfe14ced
	s_mov_b32 s28, s20
	s_mov_b32 s4, 0x9bcd5057
	s_mov_b32 s14, 0x7f775887
	s_mov_b32 s5, 0xbfeeb42a
	v_add_f64 v[44:45], v[36:37], v[44:45]
	v_mul_f64 v[69:70], v[46:47], s[18:19]
	v_mul_f64 v[73:74], v[46:47], s[24:25]
	;; [unrolled: 1-line block ×5, first 2 shown]
	s_mov_b32 s31, 0xbfed1bb4
	v_mul_f64 v[85:86], v[46:47], s[22:23]
	v_mul_f64 v[89:90], v[46:47], s[28:29]
	;; [unrolled: 1-line block ×3, first 2 shown]
	s_mov_b32 s15, 0xbfe4f49e
	s_mov_b32 s27, 0x3fefac9e
	;; [unrolled: 1-line block ×6, first 2 shown]
	v_add_f64 v[52:53], v[8:9], v[36:37]
	s_mov_b32 s7, 0x3feaeb8c
	s_mov_b32 s11, 0xbfc2375f
	;; [unrolled: 1-line block ×3, first 2 shown]
	v_mul_f64 v[71:72], v[50:51], s[20:21]
	v_mul_f64 v[75:76], v[50:51], s[26:27]
	v_add_f64 v[44:45], v[28:29], v[44:45]
	s_mov_b32 s35, 0x3fd207e7
	s_mov_b32 s34, s18
	v_fma_f64 v[101:102], v[48:49], s[4:5], -v[69:70]
	v_fma_f64 v[105:106], v[48:49], s[14:15], -v[73:74]
	v_fma_f64 v[69:70], v[48:49], s[4:5], v[69:70]
	v_fma_f64 v[73:74], v[48:49], s[14:15], v[73:74]
	v_mul_f64 v[93:94], v[50:51], s[34:35]
	v_mul_f64 v[95:96], v[50:51], s[24:25]
	;; [unrolled: 1-line block ×3, first 2 shown]
	v_fma_f64 v[113:114], v[48:49], s[10:11], -v[85:86]
	v_fma_f64 v[115:116], v[48:49], s[6:7], -v[89:90]
	;; [unrolled: 1-line block ×3, first 2 shown]
	v_fma_f64 v[85:86], v[48:49], s[10:11], v[85:86]
	v_fma_f64 v[46:47], v[48:49], s[16:17], v[46:47]
	;; [unrolled: 1-line block ×3, first 2 shown]
	v_add_f64 v[65:66], v[12:13], v[28:29]
	v_mul_f64 v[77:78], v[54:55], s[24:25]
	v_mul_f64 v[79:80], v[54:55], s[28:29]
	;; [unrolled: 1-line block ×4, first 2 shown]
	v_fma_f64 v[103:104], v[52:53], s[6:7], -v[71:72]
	v_add_f64 v[44:45], v[32:33], v[44:45]
	v_fma_f64 v[107:108], v[52:53], s[10:11], -v[75:76]
	v_fma_f64 v[71:72], v[52:53], s[6:7], v[71:72]
	v_add_f64 v[101:102], v[0:1], v[101:102]
	v_add_f64 v[105:106], v[0:1], v[105:106]
	v_fma_f64 v[75:76], v[52:53], s[10:11], v[75:76]
	v_add_f64 v[69:70], v[0:1], v[69:70]
	v_add_f64 v[73:74], v[0:1], v[73:74]
	v_fma_f64 v[89:90], v[52:53], s[4:5], -v[93:94]
	v_fma_f64 v[119:120], v[52:53], s[14:15], -v[95:96]
	v_fma_f64 v[93:94], v[52:53], s[4:5], v[93:94]
	v_fma_f64 v[95:96], v[52:53], s[14:15], v[95:96]
	;; [unrolled: 1-line block ×3, first 2 shown]
	v_fma_f64 v[50:51], v[52:53], s[16:17], -v[50:51]
	v_add_f64 v[52:53], v[0:1], v[113:114]
	v_add_f64 v[113:114], v[0:1], v[115:116]
	v_add_f64 v[115:116], v[0:1], v[117:118]
	v_add_f64 v[85:86], v[0:1], v[85:86]
	v_add_f64 v[46:47], v[0:1], v[46:47]
	v_add_f64 v[0:1], v[0:1], v[48:49]
	v_add_f64 v[67:68], v[16:17], v[32:33]
	v_mul_f64 v[91:92], v[61:62], s[18:19]
	v_add_f64 v[44:45], v[20:21], v[44:45]
	v_mul_f64 v[99:100], v[61:62], s[28:29]
	v_fma_f64 v[109:110], v[65:66], s[14:15], -v[77:78]
	v_fma_f64 v[111:112], v[65:66], s[6:7], -v[79:80]
	v_fma_f64 v[77:78], v[65:66], s[14:15], v[77:78]
	v_fma_f64 v[79:80], v[65:66], s[6:7], v[79:80]
	v_fma_f64 v[121:122], v[65:66], s[16:17], -v[87:88]
	v_fma_f64 v[48:49], v[65:66], s[4:5], -v[97:98]
	v_fma_f64 v[87:88], v[65:66], s[16:17], v[87:88]
	v_fma_f64 v[97:98], v[65:66], s[4:5], v[97:98]
	;; [unrolled: 1-line block ×3, first 2 shown]
	v_fma_f64 v[54:55], v[65:66], s[10:11], -v[54:55]
	v_mul_f64 v[65:66], v[61:62], s[26:27]
	v_add_f64 v[101:102], v[103:104], v[101:102]
	v_mul_f64 v[61:62], v[61:62], s[24:25]
	v_add_f64 v[105:106], v[107:108], v[105:106]
	v_add_f64 v[69:70], v[71:72], v[69:70]
	;; [unrolled: 1-line block ×11, first 2 shown]
	v_mul_f64 v[107:108], v[63:64], s[22:23]
	v_fma_f64 v[93:94], v[67:68], s[16:17], -v[81:82]
	v_fma_f64 v[95:96], v[67:68], s[4:5], -v[91:92]
	v_fma_f64 v[81:82], v[67:68], s[16:17], v[81:82]
	v_fma_f64 v[91:92], v[67:68], s[4:5], v[91:92]
	v_fma_f64 v[113:114], v[67:68], s[6:7], -v[99:100]
	v_fma_f64 v[99:100], v[67:68], s[6:7], v[99:100]
	v_mul_f64 v[71:72], v[63:64], s[24:25]
	v_fma_f64 v[115:116], v[67:68], s[10:11], -v[65:66]
	v_fma_f64 v[65:66], v[67:68], s[10:11], v[65:66]
	v_fma_f64 v[119:120], v[67:68], s[14:15], -v[61:62]
	v_fma_f64 v[61:62], v[67:68], s[14:15], v[61:62]
	v_add_f64 v[67:68], v[109:110], v[101:102]
	v_add_f64 v[101:102], v[111:112], v[105:106]
	v_add_f64 v[69:70], v[77:78], v[69:70]
	v_add_f64 v[73:74], v[79:80], v[73:74]
	v_mul_f64 v[75:76], v[63:64], s[20:21]
	v_add_f64 v[52:53], v[121:122], v[52:53]
	v_add_f64 v[44:45], v[16:17], v[44:45]
	;; [unrolled: 1-line block ×5, first 2 shown]
	v_mul_f64 v[63:64], v[63:64], s[18:19]
	v_add_f64 v[50:51], v[54:55], v[50:51]
	v_add_f64 v[0:1], v[117:118], v[0:1]
	v_fma_f64 v[54:55], v[103:104], s[10:11], -v[107:108]
	v_fma_f64 v[79:80], v[103:104], s[16:17], -v[83:84]
	v_fma_f64 v[85:86], v[103:104], s[10:11], v[107:108]
	v_fma_f64 v[83:84], v[103:104], s[16:17], v[83:84]
	v_fma_f64 v[87:88], v[103:104], s[14:15], -v[71:72]
	v_fma_f64 v[71:72], v[103:104], s[14:15], v[71:72]
	v_add_f64 v[67:68], v[93:94], v[67:68]
	v_add_f64 v[93:94], v[95:96], v[101:102]
	;; [unrolled: 1-line block ×4, first 2 shown]
	v_fma_f64 v[89:90], v[103:104], s[6:7], -v[75:76]
	v_add_f64 v[52:53], v[113:114], v[52:53]
	v_add_f64 v[44:45], v[12:13], v[44:45]
	;; [unrolled: 1-line block ×3, first 2 shown]
	v_fma_f64 v[75:76], v[103:104], s[6:7], v[75:76]
	v_add_f64 v[77:78], v[99:100], v[77:78]
	v_add_f64 v[46:47], v[65:66], v[46:47]
	v_fma_f64 v[97:98], v[103:104], s[4:5], -v[63:64]
	v_add_f64 v[50:51], v[119:120], v[50:51]
	v_fma_f64 v[63:64], v[103:104], s[4:5], v[63:64]
	v_add_f64 v[0:1], v[61:62], v[0:1]
	v_add_f64 v[54:55], v[54:55], v[67:68]
	;; [unrolled: 1-line block ×12, first 2 shown]
	v_mul_u32_u24_e32 v63, 0x58, v58
	v_add3_u32 v63, 0, v63, v60
	v_add_f64 v[44:45], v[4:5], v[44:45]
	ds_write2_b64 v63, v[61:62], v[54:55] offset0:4 offset1:5
	ds_write2_b64 v63, v[65:66], v[67:68] offset0:6 offset1:7
	;; [unrolled: 1-line block ×4, first 2 shown]
	ds_write2_b64 v63, v[44:45], v[50:51] offset1:1
	ds_write_b64 v63, v[0:1] offset:80
.LBB0_14:
	s_or_b32 exec_lo, exec_lo, s1
	s_waitcnt vmcnt(10)
	v_lshlrev_b32_e32 v0, 3, v58
	s_waitcnt vmcnt(0) lgkmcnt(0)
	s_barrier
	buffer_gl0_inv
	v_add_nc_u32_e32 v65, 0, v0
	v_add3_u32 v61, 0, v60, v0
	v_add_nc_u32_e32 v62, v65, v60
	v_add_nc_u32_e32 v63, 0x400, v62
	;; [unrolled: 1-line block ×3, first 2 shown]
	ds_read_b64 v[0:1], v61
	ds_read2_b64 v[48:51], v62 offset0:77 offset1:154
	ds_read2_b64 v[44:47], v63 offset0:103 offset1:180
	;; [unrolled: 1-line block ×3, first 2 shown]
	s_waitcnt lgkmcnt(0)
	s_barrier
	buffer_gl0_inv
	s_and_saveexec_b32 s30, s0
	s_cbranch_execz .LBB0_16
; %bb.15:
	v_add_f64 v[66:67], v[42:43], v[2:3]
	v_add_f64 v[4:5], v[40:41], -v[4:5]
	v_add_f64 v[12:13], v[28:29], -v[12:13]
	s_mov_b32 s22, 0xf8bb580b
	s_mov_b32 s18, 0x43842ef
	;; [unrolled: 1-line block ×10, first 2 shown]
	v_add_f64 v[42:43], v[6:7], v[42:43]
	v_add_f64 v[8:9], v[36:37], -v[8:9]
	v_add_f64 v[20:21], v[20:21], -v[24:25]
	s_mov_b32 s0, 0x8764f0ba
	s_mov_b32 s4, 0xd9c712b6
	;; [unrolled: 1-line block ×6, first 2 shown]
	v_add_f64 v[40:41], v[38:39], v[66:67]
	v_mul_f64 v[24:25], v[4:5], s[22:23]
	v_mul_f64 v[66:67], v[4:5], s[18:19]
	;; [unrolled: 1-line block ×3, first 2 shown]
	s_mov_b32 s14, 0x7f775887
	s_mov_b32 s16, 0x9bcd5057
	;; [unrolled: 1-line block ×10, first 2 shown]
	v_add_f64 v[36:37], v[10:11], v[38:39]
	v_mul_f64 v[70:71], v[8:9], s[10:11]
	v_mul_f64 v[72:73], v[8:9], s[20:21]
	;; [unrolled: 1-line block ×5, first 2 shown]
	v_add_f64 v[16:17], v[32:33], -v[16:17]
	v_add_f64 v[32:33], v[26:27], v[22:23]
	v_add_f64 v[28:29], v[30:31], v[40:41]
	v_mul_f64 v[40:41], v[4:5], s[10:11]
	v_mul_f64 v[4:5], v[4:5], s[26:27]
	v_fma_f64 v[100:101], v[42:43], s[0:1], v[24:25]
	v_fma_f64 v[104:105], v[42:43], s[6:7], v[66:67]
	;; [unrolled: 1-line block ×3, first 2 shown]
	v_fma_f64 v[68:69], v[42:43], s[14:15], -v[68:69]
	v_fma_f64 v[66:67], v[42:43], s[6:7], -v[66:67]
	v_fma_f64 v[24:25], v[42:43], s[0:1], -v[24:25]
	s_mov_b32 s11, 0x3fed1bb4
	v_add_f64 v[30:31], v[14:15], v[30:31]
	v_add_f64 v[38:39], v[18:19], v[34:35]
	v_mul_f64 v[78:79], v[12:13], s[18:19]
	v_mul_f64 v[80:81], v[12:13], s[22:23]
	;; [unrolled: 1-line block ×5, first 2 shown]
	v_fma_f64 v[110:111], v[36:37], s[16:17], v[74:75]
	v_fma_f64 v[74:75], v[36:37], s[16:17], -v[74:75]
	v_fma_f64 v[112:113], v[36:37], s[6:7], v[76:77]
	v_fma_f64 v[76:77], v[36:37], s[6:7], -v[76:77]
	v_fma_f64 v[114:115], v[36:37], s[0:1], v[8:9]
	v_add_f64 v[28:29], v[34:35], v[28:29]
	v_fma_f64 v[102:103], v[42:43], s[4:5], v[40:41]
	v_fma_f64 v[40:41], v[42:43], s[4:5], -v[40:41]
	v_fma_f64 v[108:109], v[42:43], s[16:17], v[4:5]
	v_fma_f64 v[4:5], v[42:43], s[16:17], -v[4:5]
	v_mul_f64 v[34:35], v[12:13], s[28:29]
	v_mul_f64 v[12:13], v[12:13], s[10:11]
	v_fma_f64 v[42:43], v[36:37], s[4:5], -v[70:71]
	v_fma_f64 v[8:9], v[36:37], s[0:1], -v[8:9]
	v_add_f64 v[68:69], v[2:3], v[68:69]
	v_add_f64 v[66:67], v[2:3], v[66:67]
	v_mul_f64 v[84:85], v[16:17], s[20:21]
	v_mul_f64 v[86:87], v[16:17], s[34:35]
	;; [unrolled: 1-line block ×3, first 2 shown]
	v_fma_f64 v[116:117], v[30:31], s[14:15], v[82:83]
	v_fma_f64 v[82:83], v[30:31], s[14:15], -v[82:83]
	v_mul_f64 v[90:91], v[16:17], s[26:27]
	v_mul_f64 v[16:17], v[16:17], s[10:11]
	;; [unrolled: 1-line block ×5, first 2 shown]
	v_add_f64 v[22:23], v[22:23], v[28:29]
	v_fma_f64 v[28:29], v[36:37], s[4:5], v[70:71]
	v_fma_f64 v[70:71], v[36:37], s[14:15], v[72:73]
	v_fma_f64 v[72:73], v[36:37], s[14:15], -v[72:73]
	v_add_f64 v[36:37], v[2:3], v[100:101]
	v_add_f64 v[100:101], v[2:3], v[102:103]
	;; [unrolled: 1-line block ×8, first 2 shown]
	v_fma_f64 v[24:25], v[30:31], s[6:7], v[78:79]
	v_fma_f64 v[108:109], v[30:31], s[0:1], v[80:81]
	v_fma_f64 v[80:81], v[30:31], s[0:1], -v[80:81]
	v_fma_f64 v[118:119], v[30:31], s[4:5], v[12:13]
	v_fma_f64 v[12:13], v[30:31], s[4:5], -v[12:13]
	v_add_f64 v[68:69], v[76:77], v[68:69]
	v_fma_f64 v[76:77], v[38:39], s[0:1], v[88:89]
	v_add_f64 v[22:23], v[26:27], v[22:23]
	v_fma_f64 v[26:27], v[30:31], s[6:7], -v[78:79]
	v_fma_f64 v[78:79], v[30:31], s[16:17], v[34:35]
	v_fma_f64 v[34:35], v[30:31], s[16:17], -v[34:35]
	v_add_f64 v[28:29], v[28:29], v[36:37]
	v_add_f64 v[30:31], v[70:71], v[100:101]
	;; [unrolled: 1-line block ×9, first 2 shown]
	v_fma_f64 v[66:67], v[38:39], s[6:7], v[86:87]
	v_fma_f64 v[74:75], v[38:39], s[6:7], -v[86:87]
	v_fma_f64 v[42:43], v[38:39], s[14:15], -v[84:85]
	v_fma_f64 v[86:87], v[38:39], s[16:17], v[90:91]
	v_add_f64 v[18:19], v[18:19], v[22:23]
	v_fma_f64 v[22:23], v[38:39], s[14:15], v[84:85]
	v_fma_f64 v[84:85], v[38:39], s[0:1], -v[88:89]
	v_fma_f64 v[88:89], v[38:39], s[16:17], -v[90:91]
	v_add_f64 v[24:25], v[24:25], v[28:29]
	v_add_f64 v[28:29], v[78:79], v[30:31]
	;; [unrolled: 1-line block ×4, first 2 shown]
	v_fma_f64 v[90:91], v[38:39], s[4:5], v[16:17]
	v_add_f64 v[36:37], v[108:109], v[70:71]
	v_add_f64 v[40:41], v[116:117], v[72:73]
	v_fma_f64 v[16:17], v[38:39], s[4:5], -v[16:17]
	v_add_f64 v[38:39], v[80:81], v[68:69]
	v_add_f64 v[4:5], v[82:83], v[4:5]
	;; [unrolled: 1-line block ×4, first 2 shown]
	v_fma_f64 v[26:27], v[32:33], s[0:1], v[94:95]
	v_fma_f64 v[70:71], v[32:33], s[14:15], v[96:97]
	v_fma_f64 v[68:69], v[32:33], s[0:1], -v[94:95]
	v_fma_f64 v[72:73], v[32:33], s[14:15], -v[96:97]
	v_fma_f64 v[78:79], v[32:33], s[6:7], v[98:99]
	v_fma_f64 v[80:81], v[32:33], s[6:7], -v[98:99]
	v_add_f64 v[12:13], v[14:15], v[18:19]
	v_fma_f64 v[14:15], v[32:33], s[16:17], v[92:93]
	v_fma_f64 v[18:19], v[32:33], s[16:17], -v[92:93]
	v_fma_f64 v[82:83], v[32:33], s[4:5], v[20:21]
	v_add_f64 v[22:23], v[22:23], v[24:25]
	v_add_f64 v[24:25], v[66:67], v[28:29]
	;; [unrolled: 1-line block ×4, first 2 shown]
	v_fma_f64 v[20:21], v[32:33], s[4:5], -v[20:21]
	v_add_f64 v[32:33], v[86:87], v[36:37]
	v_add_f64 v[36:37], v[90:91], v[40:41]
	;; [unrolled: 1-line block ×18, first 2 shown]
	v_mul_u32_u24_e32 v10, 0x50, v58
	v_add3_u32 v10, v65, v10, v60
	ds_write2_b64 v10, v[14:15], v[22:23] offset0:2 offset1:3
	ds_write2_b64 v10, v[24:25], v[26:27] offset0:4 offset1:5
	;; [unrolled: 1-line block ×4, first 2 shown]
	ds_write2_b64 v10, v[6:7], v[12:13] offset1:1
	ds_write_b64 v10, v[2:3] offset:80
.LBB0_16:
	s_or_b32 exec_lo, exec_lo, s30
	v_and_b32_e32 v2, 0xff, v58
	s_waitcnt lgkmcnt(0)
	s_barrier
	buffer_gl0_inv
	s_mov_b32 s6, 0x37e14327
	v_mul_lo_u16 v2, 0x75, v2
	s_mov_b32 s14, 0xe976ee23
	s_mov_b32 s7, 0x3fe948f6
	;; [unrolled: 1-line block ×4, first 2 shown]
	v_lshrrev_b16 v2, 8, v2
	s_mov_b32 s4, 0x429ad128
	s_mov_b32 s1, 0x3fac98ee
	s_mov_b32 s5, 0x3febfeb5
	s_mov_b32 s10, 0xaaaaaaaa
	v_sub_nc_u16 v3, v58, v2
	s_mov_b32 s20, 0xb247c609
	s_mov_b32 s11, 0xbff2aaaa
	;; [unrolled: 1-line block ×4, first 2 shown]
	v_lshrrev_b16 v3, 1, v3
	s_mov_b32 s17, 0x3fe77f67
	s_mov_b32 s19, 0xbfe77f67
	;; [unrolled: 1-line block ×4, first 2 shown]
	v_and_b32_e32 v3, 0x7f, v3
	s_mov_b32 s22, s20
	s_mov_b32 s24, 0x37c3f68c
	;; [unrolled: 1-line block ×3, first 2 shown]
	v_add_nc_u16 v2, v3, v2
	v_mov_b32_e32 v3, 6
	v_lshrrev_b16 v71, 3, v2
	v_mul_lo_u16 v2, v71, 11
	v_sub_nc_u16 v72, v58, v2
	v_mul_u32_u24_sdwa v2, v72, v3 dst_sel:DWORD dst_unused:UNUSED_PAD src0_sel:BYTE_0 src1_sel:DWORD
	v_lshlrev_b32_e32 v22, 4, v2
	s_clause 0x5
	global_load_dwordx4 v[2:5], v22, s[8:9]
	global_load_dwordx4 v[6:9], v22, s[8:9] offset:16
	global_load_dwordx4 v[10:13], v22, s[8:9] offset:80
	;; [unrolled: 1-line block ×5, first 2 shown]
	ds_read2_b64 v[26:29], v62 offset0:77 offset1:154
	ds_read2_b64 v[30:33], v64 offset0:129 offset1:206
	;; [unrolled: 1-line block ×3, first 2 shown]
	s_waitcnt vmcnt(5) lgkmcnt(2)
	v_mul_f64 v[38:39], v[26:27], v[4:5]
	s_waitcnt vmcnt(4)
	v_mul_f64 v[40:41], v[28:29], v[8:9]
	s_waitcnt vmcnt(3) lgkmcnt(1)
	v_mul_f64 v[42:43], v[32:33], v[12:13]
	s_waitcnt vmcnt(2)
	v_mul_f64 v[65:66], v[30:31], v[16:17]
	v_mul_f64 v[4:5], v[48:49], v[4:5]
	;; [unrolled: 1-line block ×3, first 2 shown]
	s_waitcnt vmcnt(1) lgkmcnt(0)
	v_mul_f64 v[67:68], v[34:35], v[20:21]
	v_mul_f64 v[12:13], v[54:55], v[12:13]
	;; [unrolled: 1-line block ×4, first 2 shown]
	s_waitcnt vmcnt(0)
	v_mul_f64 v[69:70], v[36:37], v[24:25]
	v_mul_f64 v[24:25], v[46:47], v[24:25]
	v_fma_f64 v[38:39], v[48:49], v[2:3], -v[38:39]
	v_fma_f64 v[40:41], v[50:51], v[6:7], -v[40:41]
	v_fma_f64 v[42:43], v[54:55], v[10:11], -v[42:43]
	v_fma_f64 v[48:49], v[52:53], v[14:15], -v[65:66]
	v_fma_f64 v[2:3], v[26:27], v[2:3], v[4:5]
	v_fma_f64 v[4:5], v[28:29], v[6:7], v[8:9]
	v_fma_f64 v[6:7], v[44:45], v[18:19], -v[67:68]
	v_fma_f64 v[8:9], v[32:33], v[10:11], v[12:13]
	v_fma_f64 v[10:11], v[30:31], v[14:15], v[16:17]
	;; [unrolled: 1-line block ×3, first 2 shown]
	v_fma_f64 v[14:15], v[46:47], v[22:23], -v[69:70]
	v_fma_f64 v[16:17], v[36:37], v[22:23], v[24:25]
	v_add_f64 v[18:19], v[38:39], v[42:43]
	v_add_f64 v[20:21], v[40:41], v[48:49]
	v_add_f64 v[28:29], v[38:39], -v[42:43]
	v_add_f64 v[22:23], v[2:3], v[8:9]
	v_add_f64 v[24:25], v[4:5], v[10:11]
	v_add_f64 v[4:5], v[4:5], -v[10:11]
	v_add_f64 v[10:11], v[6:7], v[14:15]
	v_add_f64 v[26:27], v[16:17], -v[12:13]
	v_add_f64 v[2:3], v[2:3], -v[8:9]
	v_add_f64 v[12:13], v[12:13], v[16:17]
	v_add_f64 v[16:17], v[40:41], -v[48:49]
	v_add_f64 v[6:7], v[14:15], -v[6:7]
	ds_read_b64 v[14:15], v61
	s_waitcnt lgkmcnt(0)
	s_barrier
	buffer_gl0_inv
	v_add_f64 v[8:9], v[20:21], v[18:19]
	v_add_f64 v[30:31], v[24:25], v[22:23]
	v_add_f64 v[32:33], v[18:19], -v[10:11]
	v_add_f64 v[34:35], v[26:27], -v[4:5]
	;; [unrolled: 1-line block ×5, first 2 shown]
	v_add_f64 v[4:5], v[26:27], v[4:5]
	v_add_f64 v[42:43], v[6:7], -v[16:17]
	v_add_f64 v[26:27], v[2:3], -v[26:27]
	;; [unrolled: 1-line block ×5, first 2 shown]
	v_add_f64 v[16:17], v[6:7], v[16:17]
	v_add_f64 v[6:7], v[28:29], -v[6:7]
	v_add_f64 v[8:9], v[10:11], v[8:9]
	v_add_f64 v[10:11], v[10:11], -v[20:21]
	v_add_f64 v[12:13], v[12:13], v[30:31]
	v_mul_f64 v[30:31], v[32:33], s[6:7]
	v_mul_f64 v[32:33], v[34:35], s[14:15]
	;; [unrolled: 1-line block ×5, first 2 shown]
	v_add_f64 v[2:3], v[4:5], v[2:3]
	v_mul_f64 v[4:5], v[42:43], s[14:15]
	v_mul_f64 v[42:43], v[44:45], s[4:5]
	v_add_f64 v[16:17], v[16:17], v[28:29]
	v_add_f64 v[0:1], v[0:1], v[8:9]
	v_mul_f64 v[20:21], v[10:11], s[0:1]
	v_add_f64 v[14:15], v[14:15], v[12:13]
	v_fma_f64 v[10:11], v[10:11], s[0:1], v[30:31]
	v_fma_f64 v[46:47], v[26:27], s[20:21], v[32:33]
	v_fma_f64 v[32:33], v[36:37], s[4:5], -v[32:33]
	v_fma_f64 v[26:27], v[26:27], s[22:23], -v[34:35]
	;; [unrolled: 1-line block ×5, first 2 shown]
	v_fma_f64 v[8:9], v[8:9], s[10:11], v[0:1]
	v_fma_f64 v[18:19], v[18:19], s[16:17], -v[20:21]
	v_fma_f64 v[20:21], v[40:41], s[0:1], v[24:25]
	v_fma_f64 v[24:25], v[6:7], s[20:21], v[4:5]
	v_fma_f64 v[4:5], v[44:45], s[4:5], -v[4:5]
	v_fma_f64 v[6:7], v[6:7], s[22:23], -v[42:43]
	v_fma_f64 v[12:13], v[12:13], s[10:11], v[14:15]
	v_fma_f64 v[34:35], v[2:3], s[24:25], v[46:47]
	v_fma_f64 v[32:33], v[2:3], s[24:25], v[32:33]
	v_fma_f64 v[2:3], v[2:3], s[24:25], v[26:27]
	v_add_f64 v[10:11], v[10:11], v[8:9]
	v_add_f64 v[26:27], v[30:31], v[8:9]
	;; [unrolled: 1-line block ×3, first 2 shown]
	v_fma_f64 v[18:19], v[16:17], s[24:25], v[24:25]
	v_fma_f64 v[4:5], v[16:17], s[24:25], v[4:5]
	;; [unrolled: 1-line block ×3, first 2 shown]
	v_add_f64 v[16:17], v[20:21], v[12:13]
	v_add_f64 v[20:21], v[22:23], v[12:13]
	;; [unrolled: 1-line block ×3, first 2 shown]
	v_mov_b32_e32 v30, 3
	v_and_b32_e32 v31, 0xffff, v71
	v_add_f64 v[22:23], v[34:35], v[10:11]
	v_add_f64 v[24:25], v[2:3], v[26:27]
	v_add_f64 v[28:29], v[8:9], -v[32:33]
	v_add_f64 v[8:9], v[32:33], v[8:9]
	v_add_f64 v[2:3], v[26:27], -v[2:3]
	v_add_f64 v[10:11], v[10:11], -v[34:35]
	v_mad_u32_u24 v26, 0x268, v31, 0
	v_lshlrev_b32_sdwa v27, v30, v72 dst_sel:DWORD dst_unused:UNUSED_PAD src0_sel:DWORD src1_sel:BYTE_0
	v_add_f64 v[30:31], v[20:21], -v[6:7]
	v_add_f64 v[32:33], v[4:5], v[12:13]
	v_add_f64 v[34:35], v[12:13], -v[4:5]
	v_add_f64 v[20:21], v[6:7], v[20:21]
	v_add3_u32 v36, v26, v27, v60
	v_add_f64 v[26:27], v[16:17], -v[18:19]
	v_add_f64 v[16:17], v[18:19], v[16:17]
	ds_write2_b64 v36, v[0:1], v[22:23] offset1:11
	ds_write2_b64 v36, v[24:25], v[28:29] offset0:22 offset1:33
	ds_write2_b64 v36, v[8:9], v[2:3] offset0:44 offset1:55
	ds_write_b64 v36, v[10:11] offset:528
	s_waitcnt lgkmcnt(0)
	s_barrier
	buffer_gl0_inv
	ds_read_b64 v[12:13], v61
	ds_read2_b64 v[4:7], v62 offset0:77 offset1:154
	ds_read2_b64 v[0:3], v63 offset0:103 offset1:180
	;; [unrolled: 1-line block ×3, first 2 shown]
	s_waitcnt lgkmcnt(0)
	s_barrier
	buffer_gl0_inv
	ds_write2_b64 v36, v[14:15], v[26:27] offset1:11
	ds_write2_b64 v36, v[30:31], v[32:33] offset0:22 offset1:33
	ds_write2_b64 v36, v[34:35], v[20:21] offset0:44 offset1:55
	ds_write_b64 v36, v[16:17] offset:528
	s_waitcnt lgkmcnt(0)
	s_barrier
	buffer_gl0_inv
	s_and_saveexec_b32 s26, vcc_lo
	s_cbranch_execz .LBB0_18
; %bb.17:
	v_mul_u32_u24_e32 v14, 6, v58
	v_add_nc_u32_e32 v42, 0x800, v62
	v_add_nc_u32_e32 v46, 0x400, v62
	;; [unrolled: 1-line block ×4, first 2 shown]
	v_lshlrev_b32_e32 v34, 4, v14
	v_add_nc_u32_e32 v72, 0x181, v59
	v_add_nc_u32_e32 v73, 0x1ce, v59
	s_clause 0x5
	global_load_dwordx4 v[14:17], v34, s[8:9] offset:1072
	global_load_dwordx4 v[18:21], v34, s[8:9] offset:1120
	;; [unrolled: 1-line block ×6, first 2 shown]
	ds_read2_b64 v[38:41], v62 offset0:77 offset1:154
	ds_read2_b64 v[42:45], v42 offset0:129 offset1:206
	;; [unrolled: 1-line block ×3, first 2 shown]
	s_waitcnt vmcnt(5) lgkmcnt(2)
	v_mul_f64 v[50:51], v[40:41], v[16:17]
	s_waitcnt vmcnt(4) lgkmcnt(1)
	v_mul_f64 v[52:53], v[42:43], v[20:21]
	v_mul_f64 v[16:17], v[6:7], v[16:17]
	;; [unrolled: 1-line block ×3, first 2 shown]
	s_waitcnt vmcnt(3)
	v_mul_f64 v[54:55], v[4:5], v[24:25]
	s_waitcnt vmcnt(2)
	v_mul_f64 v[62:63], v[10:11], v[28:29]
	v_mul_f64 v[24:25], v[38:39], v[24:25]
	v_mul_f64 v[28:29], v[44:45], v[28:29]
	s_waitcnt vmcnt(1) lgkmcnt(0)
	v_mul_f64 v[64:65], v[48:49], v[32:33]
	s_waitcnt vmcnt(0)
	v_mul_f64 v[66:67], v[46:47], v[36:37]
	v_mul_f64 v[36:37], v[0:1], v[36:37]
	;; [unrolled: 1-line block ×3, first 2 shown]
	v_fma_f64 v[6:7], v[6:7], v[14:15], -v[50:51]
	v_fma_f64 v[8:9], v[8:9], v[18:19], -v[52:53]
	v_fma_f64 v[14:15], v[14:15], v[40:41], v[16:17]
	v_fma_f64 v[16:17], v[18:19], v[42:43], v[20:21]
	;; [unrolled: 1-line block ×4, first 2 shown]
	v_fma_f64 v[4:5], v[4:5], v[22:23], -v[24:25]
	v_fma_f64 v[10:11], v[10:11], v[26:27], -v[28:29]
	;; [unrolled: 1-line block ×4, first 2 shown]
	v_fma_f64 v[28:29], v[34:35], v[46:47], v[36:37]
	v_fma_f64 v[30:31], v[30:31], v[48:49], v[32:33]
	ds_read_b64 v[22:23], v61
	v_mad_u64_u32 v[24:25], null, s2, v59, 0
	v_mad_u64_u32 v[40:41], null, s2, v60, 0
	v_lshlrev_b64 v[26:27], 4, v[56:57]
	v_add_nc_u32_e32 v65, 0x9a, v59
	v_add_nc_u32_e32 v67, 0xe7, v59
	v_mad_u64_u32 v[46:47], null, s2, v71, 0
	v_mad_u64_u32 v[42:43], null, s2, v65, 0
	v_add_f64 v[32:33], v[14:15], v[16:17]
	v_add_f64 v[36:37], v[6:7], v[8:9]
	;; [unrolled: 1-line block ×3, first 2 shown]
	v_add_f64 v[6:7], v[6:7], -v[8:9]
	v_add_f64 v[38:39], v[4:5], v[10:11]
	v_add_f64 v[4:5], v[4:5], -v[10:11]
	v_add_f64 v[48:49], v[2:3], -v[0:1]
	v_add_f64 v[0:1], v[2:3], v[0:1]
	v_add_f64 v[8:9], v[30:31], v[28:29]
	v_add_f64 v[2:3], v[30:31], -v[28:29]
	v_add_f64 v[10:11], v[14:15], -v[16:17]
	;; [unrolled: 1-line block ×3, first 2 shown]
	v_mad_u64_u32 v[20:21], null, s3, v59, v[25:26]
	v_mov_b32_e32 v21, v41
	v_mad_u64_u32 v[44:45], null, s2, v67, 0
	v_add_co_u32 v74, vcc_lo, s12, v26
	s_waitcnt lgkmcnt(0)
	v_mad_u64_u32 v[60:61], null, s3, v60, v[21:22]
	v_mov_b32_e32 v25, v43
	v_add_co_ci_u32_e32 v75, vcc_lo, s13, v27, vcc_lo
	v_add_f64 v[16:17], v[32:33], v[34:35]
	v_mov_b32_e32 v26, v45
	v_add_f64 v[28:29], v[36:37], v[38:39]
	v_add_f64 v[58:59], v[6:7], -v[4:5]
	v_add_f64 v[50:51], v[48:49], -v[6:7]
	v_add_f64 v[54:55], v[38:39], -v[0:1]
	v_add_f64 v[52:53], v[34:35], -v[8:9]
	v_add_f64 v[63:64], v[0:1], -v[36:37]
	v_add_f64 v[56:57], v[2:3], -v[10:11]
	v_add_f64 v[61:62], v[10:11], -v[18:19]
	v_mov_b32_e32 v27, v47
	v_mad_u64_u32 v[65:66], null, s3, v65, v[25:26]
	v_add_f64 v[6:7], v[48:49], v[6:7]
	v_add_f64 v[47:48], v[4:5], -v[48:49]
	v_mad_u64_u32 v[66:67], null, s3, v67, v[26:27]
	v_add_f64 v[10:11], v[2:3], v[10:11]
	v_add_f64 v[67:68], v[18:19], -v[2:3]
	v_mad_u64_u32 v[14:15], null, s2, v72, 0
	v_mad_u64_u32 v[30:31], null, s2, v73, 0
	v_add_f64 v[16:17], v[8:9], v[16:17]
	v_add_f64 v[28:29], v[0:1], v[28:29]
	v_add_f64 v[8:9], v[8:9], -v[32:33]
	v_add_f64 v[32:33], v[32:33], -v[34:35]
	v_mul_f64 v[49:50], v[50:51], s[14:15]
	v_mul_f64 v[51:52], v[52:53], s[6:7]
	;; [unrolled: 1-line block ×6, first 2 shown]
	v_mov_b32_e32 v41, v60
	v_mov_b32_e32 v43, v65
	v_add_f64 v[4:5], v[6:7], v[4:5]
	v_mov_b32_e32 v45, v66
	v_mov_b32_e32 v25, v20
	v_add_f64 v[6:7], v[10:11], v[18:19]
	v_lshlrev_b64 v[24:25], 4, v[24:25]
	v_add_f64 v[2:3], v[22:23], v[16:17]
	v_add_f64 v[0:1], v[12:13], v[28:29]
	v_mad_u64_u32 v[21:22], null, s3, v71, v[27:28]
	v_mul_f64 v[22:23], v[61:62], s[4:5]
	v_add_f64 v[26:27], v[36:37], -v[38:39]
	v_mul_f64 v[12:13], v[8:9], s[0:1]
	v_mad_u64_u32 v[36:37], null, s3, v72, v[15:16]
	v_mad_u64_u32 v[37:38], null, s3, v73, v[31:32]
	v_fma_f64 v[10:11], v[47:48], s[20:21], v[49:50]
	v_fma_f64 v[8:9], v[8:9], s[0:1], v[51:52]
	;; [unrolled: 1-line block ×4, first 2 shown]
	v_fma_f64 v[63:64], v[47:48], s[22:23], -v[69:70]
	v_fma_f64 v[48:49], v[58:59], s[4:5], -v[49:50]
	;; [unrolled: 1-line block ×3, first 2 shown]
	v_mov_b32_e32 v47, v21
	v_lshlrev_b64 v[20:21], 4, v[40:41]
	v_mov_b32_e32 v15, v36
	v_mov_b32_e32 v31, v37
	v_fma_f64 v[16:17], v[16:17], s[10:11], v[2:3]
	v_fma_f64 v[28:29], v[28:29], s[10:11], v[0:1]
	v_lshlrev_b64 v[40:41], 4, v[46:47]
	v_lshlrev_b64 v[36:37], 4, v[44:45]
	v_fma_f64 v[22:23], v[67:68], s[22:23], -v[22:23]
	v_fma_f64 v[52:53], v[26:27], s[18:19], -v[53:54]
	;; [unrolled: 1-line block ×5, first 2 shown]
	v_lshlrev_b64 v[34:35], 4, v[42:43]
	v_add_co_u32 v58, vcc_lo, v74, v24
	v_fma_f64 v[42:43], v[4:5], s[24:25], v[10:11]
	v_add_co_ci_u32_e32 v59, vcc_lo, v75, v25, vcc_lo
	v_fma_f64 v[38:39], v[6:7], s[24:25], v[38:39]
	v_fma_f64 v[46:47], v[4:5], s[24:25], v[48:49]
	;; [unrolled: 1-line block ×3, first 2 shown]
	v_add_co_u32 v60, vcc_lo, v74, v20
	v_add_co_ci_u32_e32 v61, vcc_lo, v75, v21, vcc_lo
	v_add_f64 v[8:9], v[8:9], v[16:17]
	v_add_f64 v[48:49], v[18:19], v[28:29]
	;; [unrolled: 1-line block ×3, first 2 shown]
	v_lshlrev_b64 v[54:55], 4, v[14:15]
	v_fma_f64 v[56:57], v[6:7], s[24:25], v[22:23]
	v_add_f64 v[52:53], v[52:53], v[28:29]
	v_add_f64 v[12:13], v[12:13], v[16:17]
	v_fma_f64 v[32:33], v[6:7], s[24:25], v[32:33]
	v_add_f64 v[28:29], v[26:27], v[28:29]
	v_add_co_u32 v34, vcc_lo, v74, v34
	v_add_co_ci_u32_e32 v35, vcc_lo, v75, v35, vcc_lo
	v_lshlrev_b64 v[30:31], 4, v[30:31]
	v_add_f64 v[26:27], v[8:9], -v[42:43]
	v_add_f64 v[24:25], v[38:39], v[48:49]
	v_add_f64 v[22:23], v[50:51], -v[44:45]
	v_add_f64 v[6:7], v[42:43], v[8:9]
	v_add_f64 v[10:11], v[44:45], v[50:51]
	;; [unrolled: 1-line block ×4, first 2 shown]
	v_add_f64 v[14:15], v[12:13], -v[46:47]
	v_add_f64 v[16:17], v[28:29], -v[32:33]
	v_add_f64 v[12:13], v[32:33], v[28:29]
	v_add_f64 v[8:9], v[52:53], -v[56:57]
	v_add_f64 v[4:5], v[48:49], -v[38:39]
	v_add_co_u32 v28, vcc_lo, v74, v36
	v_add_co_ci_u32_e32 v29, vcc_lo, v75, v37, vcc_lo
	v_add_co_u32 v32, vcc_lo, v74, v40
	v_add_co_ci_u32_e32 v33, vcc_lo, v75, v41, vcc_lo
	;; [unrolled: 2-line block ×4, first 2 shown]
	global_store_dwordx4 v[58:59], v[0:3], off
	global_store_dwordx4 v[60:61], v[24:27], off
	;; [unrolled: 1-line block ×7, first 2 shown]
.LBB0_18:
	s_endpgm
	.section	.rodata,"a",@progbits
	.p2align	6, 0x0
	.amdhsa_kernel fft_rtc_fwd_len539_factors_11_7_7_wgs_231_tpt_77_halfLds_dp_ip_CI_sbrr_dirReg
		.amdhsa_group_segment_fixed_size 0
		.amdhsa_private_segment_fixed_size 0
		.amdhsa_kernarg_size 88
		.amdhsa_user_sgpr_count 6
		.amdhsa_user_sgpr_private_segment_buffer 1
		.amdhsa_user_sgpr_dispatch_ptr 0
		.amdhsa_user_sgpr_queue_ptr 0
		.amdhsa_user_sgpr_kernarg_segment_ptr 1
		.amdhsa_user_sgpr_dispatch_id 0
		.amdhsa_user_sgpr_flat_scratch_init 0
		.amdhsa_user_sgpr_private_segment_size 0
		.amdhsa_wavefront_size32 1
		.amdhsa_uses_dynamic_stack 0
		.amdhsa_system_sgpr_private_segment_wavefront_offset 0
		.amdhsa_system_sgpr_workgroup_id_x 1
		.amdhsa_system_sgpr_workgroup_id_y 0
		.amdhsa_system_sgpr_workgroup_id_z 0
		.amdhsa_system_sgpr_workgroup_info 0
		.amdhsa_system_vgpr_workitem_id 0
		.amdhsa_next_free_vgpr 125
		.amdhsa_next_free_sgpr 36
		.amdhsa_reserve_vcc 1
		.amdhsa_reserve_flat_scratch 0
		.amdhsa_float_round_mode_32 0
		.amdhsa_float_round_mode_16_64 0
		.amdhsa_float_denorm_mode_32 3
		.amdhsa_float_denorm_mode_16_64 3
		.amdhsa_dx10_clamp 1
		.amdhsa_ieee_mode 1
		.amdhsa_fp16_overflow 0
		.amdhsa_workgroup_processor_mode 1
		.amdhsa_memory_ordered 1
		.amdhsa_forward_progress 0
		.amdhsa_shared_vgpr_count 0
		.amdhsa_exception_fp_ieee_invalid_op 0
		.amdhsa_exception_fp_denorm_src 0
		.amdhsa_exception_fp_ieee_div_zero 0
		.amdhsa_exception_fp_ieee_overflow 0
		.amdhsa_exception_fp_ieee_underflow 0
		.amdhsa_exception_fp_ieee_inexact 0
		.amdhsa_exception_int_div_zero 0
	.end_amdhsa_kernel
	.text
.Lfunc_end0:
	.size	fft_rtc_fwd_len539_factors_11_7_7_wgs_231_tpt_77_halfLds_dp_ip_CI_sbrr_dirReg, .Lfunc_end0-fft_rtc_fwd_len539_factors_11_7_7_wgs_231_tpt_77_halfLds_dp_ip_CI_sbrr_dirReg
                                        ; -- End function
	.section	.AMDGPU.csdata,"",@progbits
; Kernel info:
; codeLenInByte = 7760
; NumSgprs: 38
; NumVgprs: 125
; ScratchSize: 0
; MemoryBound: 1
; FloatMode: 240
; IeeeMode: 1
; LDSByteSize: 0 bytes/workgroup (compile time only)
; SGPRBlocks: 4
; VGPRBlocks: 15
; NumSGPRsForWavesPerEU: 38
; NumVGPRsForWavesPerEU: 125
; Occupancy: 8
; WaveLimiterHint : 1
; COMPUTE_PGM_RSRC2:SCRATCH_EN: 0
; COMPUTE_PGM_RSRC2:USER_SGPR: 6
; COMPUTE_PGM_RSRC2:TRAP_HANDLER: 0
; COMPUTE_PGM_RSRC2:TGID_X_EN: 1
; COMPUTE_PGM_RSRC2:TGID_Y_EN: 0
; COMPUTE_PGM_RSRC2:TGID_Z_EN: 0
; COMPUTE_PGM_RSRC2:TIDIG_COMP_CNT: 0
	.text
	.p2alignl 6, 3214868480
	.fill 48, 4, 3214868480
	.type	__hip_cuid_756951318a1b3378,@object ; @__hip_cuid_756951318a1b3378
	.section	.bss,"aw",@nobits
	.globl	__hip_cuid_756951318a1b3378
__hip_cuid_756951318a1b3378:
	.byte	0                               ; 0x0
	.size	__hip_cuid_756951318a1b3378, 1

	.ident	"AMD clang version 19.0.0git (https://github.com/RadeonOpenCompute/llvm-project roc-6.4.0 25133 c7fe45cf4b819c5991fe208aaa96edf142730f1d)"
	.section	".note.GNU-stack","",@progbits
	.addrsig
	.addrsig_sym __hip_cuid_756951318a1b3378
	.amdgpu_metadata
---
amdhsa.kernels:
  - .args:
      - .actual_access:  read_only
        .address_space:  global
        .offset:         0
        .size:           8
        .value_kind:     global_buffer
      - .offset:         8
        .size:           8
        .value_kind:     by_value
      - .actual_access:  read_only
        .address_space:  global
        .offset:         16
        .size:           8
        .value_kind:     global_buffer
      - .actual_access:  read_only
        .address_space:  global
        .offset:         24
        .size:           8
        .value_kind:     global_buffer
      - .offset:         32
        .size:           8
        .value_kind:     by_value
      - .actual_access:  read_only
        .address_space:  global
        .offset:         40
        .size:           8
        .value_kind:     global_buffer
      - .actual_access:  read_only
        .address_space:  global
        .offset:         48
        .size:           8
        .value_kind:     global_buffer
      - .offset:         56
        .size:           4
        .value_kind:     by_value
      - .actual_access:  read_only
        .address_space:  global
        .offset:         64
        .size:           8
        .value_kind:     global_buffer
      - .actual_access:  read_only
        .address_space:  global
        .offset:         72
        .size:           8
        .value_kind:     global_buffer
      - .address_space:  global
        .offset:         80
        .size:           8
        .value_kind:     global_buffer
    .group_segment_fixed_size: 0
    .kernarg_segment_align: 8
    .kernarg_segment_size: 88
    .language:       OpenCL C
    .language_version:
      - 2
      - 0
    .max_flat_workgroup_size: 231
    .name:           fft_rtc_fwd_len539_factors_11_7_7_wgs_231_tpt_77_halfLds_dp_ip_CI_sbrr_dirReg
    .private_segment_fixed_size: 0
    .sgpr_count:     38
    .sgpr_spill_count: 0
    .symbol:         fft_rtc_fwd_len539_factors_11_7_7_wgs_231_tpt_77_halfLds_dp_ip_CI_sbrr_dirReg.kd
    .uniform_work_group_size: 1
    .uses_dynamic_stack: false
    .vgpr_count:     125
    .vgpr_spill_count: 0
    .wavefront_size: 32
    .workgroup_processor_mode: 1
amdhsa.target:   amdgcn-amd-amdhsa--gfx1030
amdhsa.version:
  - 1
  - 2
...

	.end_amdgpu_metadata
